;; amdgpu-corpus repo=zjin-lcf/HeCBench kind=compiled arch=gfx906 opt=O3
	.amdgcn_target "amdgcn-amd-amdhsa--gfx906"
	.amdhsa_code_object_version 6
	.text
	.protected	_Z17StringSearchNaivePKhjS0_jPjS1_j ; -- Begin function _Z17StringSearchNaivePKhjS0_jPjS1_j
	.globl	_Z17StringSearchNaivePKhjS0_jPjS1_j
	.p2align	8
	.type	_Z17StringSearchNaivePKhjS0_jPjS1_j,@function
_Z17StringSearchNaivePKhjS0_jPjS1_j:    ; @_Z17StringSearchNaivePKhjS0_jPjS1_j
; %bb.0:
	s_load_dword s0, s[4:5], 0x8
	s_load_dword s7, s[4:5], 0x18
	;; [unrolled: 1-line block ×3, first 2 shown]
	s_waitcnt lgkmcnt(0)
	s_sub_i32 s23, s0, s7
	s_add_i32 s23, s23, 1
	s_mul_i32 s26, s22, s6
	s_cmp_gt_u32 s26, s23
	s_cbranch_scc1 .LBB0_31
; %bb.1:
	s_load_dword s0, s[4:5], 0x44
	v_cmp_gt_u32_e32 vcc, s7, v0
	s_waitcnt lgkmcnt(0)
	s_and_b32 s27, s0, 0xffff
	s_and_saveexec_b64 s[12:13], vcc
	s_cbranch_execz .LBB0_14
; %bb.2:
	s_load_dwordx2 s[14:15], s[4:5], 0x10
	v_add_u32_e32 v1, 1, v0
	v_max_u32_e32 v1, s7, v1
	s_and_b32 s0, s27, 0xffff
	v_sub_u32_e32 v1, v1, v0
	s_cmp_eq_u32 s0, 1
	v_cmp_lt_u32_e32 vcc, 3, v1
	s_cselect_b64 s[0:1], -1, 0
	s_and_b64 s[2:3], vcc, s[0:1]
	s_mov_b64 s[0:1], -1
	v_mov_b32_e32 v3, v0
	s_and_saveexec_b64 s[16:17], s[2:3]
	s_cbranch_execz .LBB0_11
; %bb.3:
	v_add_u32_e32 v3, -4, v1
	v_lshrrev_b32_e32 v2, 2, v3
	v_add_u32_e32 v2, 1, v2
	v_cmp_lt_u32_e32 vcc, 11, v3
	v_mov_b32_e32 v6, 0
	s_and_saveexec_b64 s[18:19], vcc
	s_cbranch_execz .LBB0_7
; %bb.4:
	v_and_b32_e32 v3, 0x7ffffffc, v2
	v_add_u32_e32 v4, 4, v0
	s_mov_b32 s24, 0
	s_mov_b64 s[20:21], 0
	v_mov_b32_e32 v5, 26
.LBB0_5:                                ; =>This Inner Loop Header: Depth=1
	v_add_u32_e32 v6, s24, v0
	s_waitcnt lgkmcnt(0)
	global_load_dword v7, v6, s[14:15]
	v_add_u32_e32 v8, 4, v6
	v_add_u32_e32 v9, 8, v6
	;; [unrolled: 1-line block ×3, first 2 shown]
	global_load_dword v10, v8, s[14:15]
	global_load_dword v11, v9, s[14:15]
	;; [unrolled: 1-line block ×3, first 2 shown]
	v_add_u32_e32 v3, -4, v3
	s_waitcnt vmcnt(3)
	v_lshrrev_b32_e32 v6, 16, v7
	v_add_u16_e32 v13, 0xffbf, v7
	v_lshrrev_b32_e32 v8, 24, v7
	v_lshrrev_b16_e32 v9, 8, v7
	v_add_u16_e32 v14, 32, v7
	v_add_u16_e32 v17, 0xffbf, v6
	v_cmp_lt_u16_sdwa vcc, v13, v5 src0_sel:BYTE_0 src1_sel:DWORD
	v_add_u16_e32 v15, 0xffbf, v9
	v_add_u16_e32 v16, 0xffbf, v8
	;; [unrolled: 1-line block ×3, first 2 shown]
	v_cndmask_b32_e32 v7, v7, v14, vcc
	v_cmp_lt_u16_sdwa vcc, v17, v5 src0_sel:BYTE_0 src1_sel:DWORD
	s_waitcnt vmcnt(2)
	v_add_u16_e32 v17, 0xffbf, v10
	v_lshrrev_b32_e32 v13, 16, v10
	v_lshrrev_b32_e32 v14, 24, v10
	v_lshrrev_b16_e32 v21, 8, v10
	v_cmp_lt_u16_sdwa s[0:1], v16, v5 src0_sel:BYTE_0 src1_sel:DWORD
	v_add_u16_e32 v16, 32, v10
	v_cmp_lt_u16_sdwa s[2:3], v15, v5 src0_sel:BYTE_0 src1_sel:DWORD
	s_waitcnt vmcnt(1)
	v_add_u16_e32 v15, 0xffbf, v11
	v_cndmask_b32_e32 v6, v6, v18, vcc
	v_cmp_lt_u16_sdwa vcc, v17, v5 src0_sel:BYTE_0 src1_sel:DWORD
	v_add_u16_e32 v19, 32, v8
	v_add_u16_e32 v20, 32, v9
	;; [unrolled: 1-line block ×3, first 2 shown]
	v_cndmask_b32_e32 v10, v10, v16, vcc
	v_add_u16_e32 v16, 0xffbf, v14
	v_cmp_lt_u16_sdwa vcc, v15, v5 src0_sel:BYTE_0 src1_sel:DWORD
	v_add_u16_e32 v15, 0xffbf, v13
	v_cndmask_b32_e64 v9, v9, v20, s[2:3]
	v_cndmask_b32_e64 v8, v8, v19, s[0:1]
	s_waitcnt vmcnt(0)
	v_add_u16_e32 v19, 0xffbf, v12
	v_cmp_lt_u16_sdwa s[2:3], v15, v5 src0_sel:BYTE_0 src1_sel:DWORD
	v_add_u16_e32 v15, 32, v14
	v_cmp_lt_u16_sdwa s[8:9], v16, v5 src0_sel:BYTE_0 src1_sel:DWORD
	;; [unrolled: 2-line block ×3, first 2 shown]
	v_lshrrev_b32_e32 v17, 16, v11
	v_cmp_lt_u16_sdwa s[0:1], v19, v5 src0_sel:BYTE_0 src1_sel:DWORD
	v_add_u16_e32 v19, 32, v13
	v_cndmask_b32_e64 v16, v21, v16, s[10:11]
	v_lshrrev_b16_e32 v21, 8, v11
	v_cndmask_b32_e64 v14, v14, v15, s[8:9]
	v_add_u16_e32 v15, 0xffbf, v17
	v_add_u16_e32 v20, 32, v11
	v_cndmask_b32_e64 v13, v13, v19, s[2:3]
	v_cmp_lt_u16_sdwa s[2:3], v15, v5 src0_sel:BYTE_0 src1_sel:DWORD
	v_add_u16_e32 v15, 0xffbf, v21
	v_add_u16_e32 v22, 32, v21
	v_cmp_lt_u16_sdwa s[8:9], v15, v5 src0_sel:BYTE_0 src1_sel:DWORD
	v_cndmask_b32_e32 v15, v11, v20, vcc
	v_lshrrev_b32_e32 v11, 24, v11
	v_cndmask_b32_e64 v20, v21, v22, s[8:9]
	v_add_u16_e32 v21, 0xffbf, v11
	v_add_u16_e32 v19, 32, v17
	v_cmp_lt_u16_sdwa vcc, v21, v5 src0_sel:BYTE_0 src1_sel:DWORD
	v_lshrrev_b16_e32 v21, 8, v12
	v_add_u16_e32 v22, 32, v11
	v_cndmask_b32_e64 v17, v17, v19, s[2:3]
	v_add_u16_e32 v19, 0xffbf, v21
	v_cndmask_b32_e32 v11, v11, v22, vcc
	v_add_u16_e32 v22, 32, v21
	v_cmp_lt_u16_sdwa vcc, v19, v5 src0_sel:BYTE_0 src1_sel:DWORD
	v_add_u16_e32 v18, 32, v12
	v_cndmask_b32_e32 v19, v21, v22, vcc
	v_lshrrev_b32_e32 v21, 24, v12
	v_add_u16_e32 v22, 0xffbf, v21
	v_cndmask_b32_e64 v18, v12, v18, s[0:1]
	v_lshrrev_b32_e32 v12, 16, v12
	v_add_u16_e32 v23, 32, v21
	v_cmp_lt_u16_sdwa vcc, v22, v5 src0_sel:BYTE_0 src1_sel:DWORD
	v_add_u16_e32 v22, 0xffbf, v12
	v_cndmask_b32_e32 v21, v21, v23, vcc
	v_add_u16_e32 v23, 32, v12
	v_cmp_lt_u16_sdwa vcc, v22, v5 src0_sel:BYTE_0 src1_sel:DWORD
	v_lshlrev_b16_e32 v9, 8, v9
	v_cndmask_b32_e32 v12, v12, v23, vcc
	v_or_b32_sdwa v7, v7, v9 dst_sel:DWORD dst_unused:UNUSED_PAD src0_sel:BYTE_0 src1_sel:DWORD
	v_lshlrev_b16_e32 v8, 8, v8
	v_lshlrev_b16_e32 v9, 8, v16
	;; [unrolled: 1-line block ×7, first 2 shown]
	v_add_u32_e32 v22, s24, v4
	s_add_i32 s24, s24, 16
	v_cmp_eq_u32_e32 vcc, 0, v3
	v_or_b32_sdwa v8, v6, v8 dst_sel:WORD_1 dst_unused:UNUSED_PAD src0_sel:BYTE_0 src1_sel:DWORD
	v_or_b32_sdwa v9, v10, v9 dst_sel:DWORD dst_unused:UNUSED_PAD src0_sel:BYTE_0 src1_sel:DWORD
	v_or_b32_sdwa v10, v13, v14 dst_sel:WORD_1 dst_unused:UNUSED_PAD src0_sel:BYTE_0 src1_sel:DWORD
	v_or_b32_sdwa v13, v15, v16 dst_sel:DWORD dst_unused:UNUSED_PAD src0_sel:BYTE_0 src1_sel:DWORD
	;; [unrolled: 2-line block ×3, first 2 shown]
	v_or_b32_sdwa v12, v12, v20 dst_sel:WORD_1 dst_unused:UNUSED_PAD src0_sel:BYTE_0 src1_sel:DWORD
	v_mov_b32_e32 v6, s24
	s_or_b64 s[20:21], vcc, s[20:21]
	v_or_b32_sdwa v7, v7, v8 dst_sel:DWORD dst_unused:UNUSED_PAD src0_sel:WORD_0 src1_sel:DWORD
	v_or_b32_sdwa v8, v9, v10 dst_sel:DWORD dst_unused:UNUSED_PAD src0_sel:WORD_0 src1_sel:DWORD
	;; [unrolled: 1-line block ×4, first 2 shown]
	ds_write_b128 v22, v[7:10]
	s_andn2_b64 exec, exec, s[20:21]
	s_cbranch_execnz .LBB0_5
; %bb.6:
	s_or_b64 exec, exec, s[20:21]
.LBB0_7:
	s_or_b64 exec, exec, s[18:19]
	v_and_b32_e32 v3, 3, v2
	v_cmp_ne_u32_e32 vcc, 0, v3
	s_and_saveexec_b64 s[0:1], vcc
	s_cbranch_execz .LBB0_10
; %bb.8:
	v_add_u32_e32 v2, v0, v6
	v_lshlrev_b32_e32 v3, 2, v3
	s_mov_b64 s[2:3], 0
	v_mov_b32_e32 v4, 26
.LBB0_9:                                ; =>This Inner Loop Header: Depth=1
	s_waitcnt lgkmcnt(0)
	global_load_dword v5, v2, s[14:15]
	v_add_u32_e32 v3, -4, v3
	v_cmp_eq_u32_e32 vcc, 0, v3
	s_or_b64 s[2:3], vcc, s[2:3]
	v_add_u32_e32 v2, 4, v2
	s_waitcnt vmcnt(0)
	v_lshrrev_b16_e32 v8, 8, v5
	v_add_u16_e32 v9, 0xffbf, v5
	v_lshrrev_b32_e32 v7, 24, v5
	v_add_u16_e32 v10, 32, v5
	v_add_u16_e32 v11, 0xffbf, v8
	v_cmp_lt_u16_sdwa vcc, v9, v4 src0_sel:BYTE_0 src1_sel:DWORD
	v_lshrrev_b32_e32 v6, 16, v5
	v_add_u16_e32 v12, 0xffbf, v7
	v_add_u16_e32 v16, 32, v8
	v_cndmask_b32_e32 v5, v5, v10, vcc
	v_cmp_lt_u16_sdwa vcc, v11, v4 src0_sel:BYTE_0 src1_sel:DWORD
	v_add_u16_e32 v13, 0xffbf, v6
	v_add_u16_e32 v15, 32, v7
	v_cndmask_b32_e32 v8, v8, v16, vcc
	v_cmp_lt_u16_sdwa vcc, v12, v4 src0_sel:BYTE_0 src1_sel:DWORD
	v_add_u16_e32 v14, 32, v6
	v_cndmask_b32_e32 v7, v7, v15, vcc
	v_cmp_lt_u16_sdwa vcc, v13, v4 src0_sel:BYTE_0 src1_sel:DWORD
	v_cndmask_b32_e32 v6, v6, v14, vcc
	v_lshlrev_b16_e32 v8, 8, v8
	v_lshlrev_b16_e32 v7, 8, v7
	v_or_b32_sdwa v5, v5, v8 dst_sel:DWORD dst_unused:UNUSED_PAD src0_sel:BYTE_0 src1_sel:DWORD
	v_or_b32_sdwa v6, v6, v7 dst_sel:WORD_1 dst_unused:UNUSED_PAD src0_sel:BYTE_0 src1_sel:DWORD
	v_or_b32_sdwa v5, v5, v6 dst_sel:DWORD dst_unused:UNUSED_PAD src0_sel:WORD_0 src1_sel:DWORD
	ds_write_b32 v2, v5
	s_andn2_b64 exec, exec, s[2:3]
	s_cbranch_execnz .LBB0_9
.LBB0_10:
	s_or_b64 exec, exec, s[0:1]
	v_and_b32_e32 v2, -4, v1
	v_cmp_ne_u32_e32 vcc, v1, v2
	v_add_u32_e32 v3, v0, v2
	s_orn2_b64 s[0:1], vcc, exec
.LBB0_11:
	s_or_b64 exec, exec, s[16:17]
	s_and_b64 exec, exec, s[0:1]
	s_cbranch_execz .LBB0_14
; %bb.12:
	s_waitcnt lgkmcnt(0)
	v_mov_b32_e32 v2, s15
	v_add_co_u32_e32 v1, vcc, s14, v3
	v_addc_co_u32_e32 v2, vcc, 0, v2, vcc
	s_mov_b64 s[0:1], 0
	v_mov_b32_e32 v4, 26
.LBB0_13:                               ; =>This Inner Loop Header: Depth=1
	global_load_ubyte v5, v[1:2], off
	v_add_co_u32_e32 v1, vcc, s27, v1
	v_add_u32_e32 v6, 4, v3
	v_add_u32_e32 v3, s27, v3
	v_addc_co_u32_e32 v2, vcc, 0, v2, vcc
	v_cmp_le_u32_e32 vcc, s7, v3
	s_or_b64 s[0:1], vcc, s[0:1]
	s_waitcnt vmcnt(0)
	v_add_u16_e32 v7, 0xffbf, v5
	v_add_u16_e32 v8, 32, v5
	v_cmp_lt_u16_sdwa vcc, v7, v4 src0_sel:BYTE_0 src1_sel:DWORD
	v_cndmask_b32_e32 v5, v5, v8, vcc
	ds_write_b8 v6, v5
	s_andn2_b64 exec, exec, s[0:1]
	s_cbranch_execnz .LBB0_13
.LBB0_14:
	s_or_b64 exec, exec, s[12:13]
	v_cmp_eq_u32_e64 s[0:1], 0, v0
	s_and_saveexec_b64 s[2:3], s[0:1]
; %bb.15:
	v_mov_b32_e32 v1, 0
	ds_write_b32 v1, v1
; %bb.16:
	s_or_b64 exec, exec, s[2:3]
	s_load_dwordx4 s[8:11], s[4:5], 0x20
	s_add_i32 s2, s26, s22
	s_min_u32 s28, s2, s23
	v_add_u32_e32 v4, s26, v0
	v_cmp_gt_u32_e32 vcc, s28, v4
	s_waitcnt lgkmcnt(0)
	s_barrier
	s_and_saveexec_b64 s[12:13], vcc
	s_cbranch_execz .LBB0_29
; %bb.17:
	s_load_dwordx2 s[4:5], s[4:5], 0x0
	s_cmp_lg_u32 s7, 0
	s_cselect_b64 s[2:3], -1, 0
	v_cndmask_b32_e64 v0, 0, 1, s[2:3]
	s_mov_b64 s[14:15], 0
	v_cmp_ne_u32_e64 s[2:3], 1, v0
	v_mov_b32_e32 v1, 0
	v_mov_b32_e32 v5, 26
	s_branch .LBB0_20
.LBB0_18:                               ;   in Loop: Header=BB0_20 Depth=1
	s_or_b64 exec, exec, s[16:17]
	s_waitcnt lgkmcnt(0)
	v_readfirstlane_b32 s16, v2
	s_add_i32 s16, s26, s16
	v_add_u32_e32 v0, s16, v0
	v_lshlrev_b64 v[2:3], 2, v[0:1]
	v_mov_b32_e32 v0, s9
	v_add_co_u32_e32 v2, vcc, s8, v2
	v_addc_co_u32_e32 v3, vcc, v0, v3, vcc
	global_store_dword v[2:3], v4, off
.LBB0_19:                               ;   in Loop: Header=BB0_20 Depth=1
	s_or_b64 exec, exec, s[18:19]
	v_add_u32_e32 v4, s27, v4
	v_cmp_le_u32_e32 vcc, s28, v4
	s_or_b64 s[14:15], vcc, s[14:15]
	s_andn2_b64 exec, exec, s[14:15]
	s_cbranch_execz .LBB0_29
.LBB0_20:                               ; =>This Loop Header: Depth=1
                                        ;     Child Loop BB0_23 Depth 2
	s_and_b64 vcc, exec, s[2:3]
	s_mov_b64 s[16:17], -1
	s_cbranch_vccnz .LBB0_26
; %bb.21:                               ;   in Loop: Header=BB0_20 Depth=1
	s_waitcnt lgkmcnt(0)
	v_mov_b32_e32 v0, s5
	v_add_co_u32_e32 v2, vcc, s4, v4
	v_addc_co_u32_e32 v3, vcc, 0, v0, vcc
	s_mov_b32 s29, 4
	s_mov_b64 s[18:19], 0
	s_mov_b32 s30, s7
                                        ; implicit-def: $sgpr16_sgpr17
                                        ; implicit-def: $sgpr22_sgpr23
                                        ; implicit-def: $sgpr20_sgpr21
	s_branch .LBB0_23
.LBB0_22:                               ;   in Loop: Header=BB0_23 Depth=2
	s_or_b64 exec, exec, s[24:25]
	s_xor_b64 s[24:25], s[20:21], -1
	s_and_b64 s[34:35], exec, s[22:23]
	s_or_b64 s[18:19], s[34:35], s[18:19]
	s_andn2_b64 s[16:17], s[16:17], exec
	s_and_b64 s[24:25], s[24:25], exec
	s_or_b64 s[16:17], s[16:17], s[24:25]
	s_andn2_b64 exec, exec, s[18:19]
	s_cbranch_execz .LBB0_25
.LBB0_23:                               ;   Parent Loop BB0_20 Depth=1
                                        ; =>  This Inner Loop Header: Depth=2
	global_load_ubyte v0, v[2:3], off
	v_mov_b32_e32 v6, s29
	ds_read_u8 v6, v6
	s_or_b64 s[20:21], s[20:21], exec
	s_or_b64 s[22:23], s[22:23], exec
	s_waitcnt vmcnt(0)
	v_add_u16_e32 v7, 0xffbf, v0
	v_add_u16_e32 v8, 32, v0
	v_cmp_lt_u16_sdwa vcc, v7, v5 src0_sel:BYTE_0 src1_sel:DWORD
	v_cndmask_b32_e32 v0, v0, v8, vcc
	s_waitcnt lgkmcnt(0)
	v_cmp_eq_u16_sdwa s[34:35], v0, v6 src0_sel:BYTE_0 src1_sel:DWORD
	s_and_saveexec_b64 s[24:25], s[34:35]
	s_cbranch_execz .LBB0_22
; %bb.24:                               ;   in Loop: Header=BB0_23 Depth=2
	s_add_i32 s29, s29, 1
	s_add_i32 s30, s30, -1
	s_cmp_eq_u32 s30, 0
	s_cselect_b64 s[34:35], -1, 0
	v_add_co_u32_e32 v2, vcc, 1, v2
	s_andn2_b64 s[22:23], s[22:23], exec
	s_and_b64 s[34:35], s[34:35], exec
	v_addc_co_u32_e32 v3, vcc, 0, v3, vcc
	s_andn2_b64 s[20:21], s[20:21], exec
	s_or_b64 s[22:23], s[22:23], s[34:35]
	s_branch .LBB0_22
.LBB0_25:                               ;   in Loop: Header=BB0_20 Depth=1
	s_or_b64 exec, exec, s[18:19]
.LBB0_26:                               ;   in Loop: Header=BB0_20 Depth=1
	s_and_saveexec_b64 s[18:19], s[16:17]
	s_cbranch_execz .LBB0_19
; %bb.27:                               ;   in Loop: Header=BB0_20 Depth=1
	s_mov_b64 s[20:21], exec
	v_mbcnt_lo_u32_b32 v0, s20, 0
	v_mbcnt_hi_u32_b32 v0, s21, v0
	v_cmp_eq_u32_e32 vcc, 0, v0
                                        ; implicit-def: $vgpr2
	s_and_saveexec_b64 s[16:17], vcc
	s_cbranch_execz .LBB0_18
; %bb.28:                               ;   in Loop: Header=BB0_20 Depth=1
	s_bcnt1_i32_b64 s20, s[20:21]
	v_mov_b32_e32 v2, s20
	ds_add_rtn_u32 v2, v1, v2
	s_branch .LBB0_18
.LBB0_29:
	s_or_b64 exec, exec, s[12:13]
	s_waitcnt vmcnt(0) lgkmcnt(0)
	s_barrier
	s_and_saveexec_b64 s[2:3], s[0:1]
	s_cbranch_execz .LBB0_31
; %bb.30:
	v_mov_b32_e32 v0, 0
	ds_read_b32 v1, v0
	s_ashr_i32 s7, s6, 31
	s_lshl_b64 s[0:1], s[6:7], 2
	s_add_u32 s0, s10, s0
	s_addc_u32 s1, s11, s1
	s_waitcnt lgkmcnt(0)
	global_store_dword v0, v1, s[0:1]
.LBB0_31:
	s_endpgm
	.section	.rodata,"a",@progbits
	.p2align	6, 0x0
	.amdhsa_kernel _Z17StringSearchNaivePKhjS0_jPjS1_j
		.amdhsa_group_segment_fixed_size 4
		.amdhsa_private_segment_fixed_size 0
		.amdhsa_kernarg_size 312
		.amdhsa_user_sgpr_count 6
		.amdhsa_user_sgpr_private_segment_buffer 1
		.amdhsa_user_sgpr_dispatch_ptr 0
		.amdhsa_user_sgpr_queue_ptr 0
		.amdhsa_user_sgpr_kernarg_segment_ptr 1
		.amdhsa_user_sgpr_dispatch_id 0
		.amdhsa_user_sgpr_flat_scratch_init 0
		.amdhsa_user_sgpr_private_segment_size 0
		.amdhsa_uses_dynamic_stack 0
		.amdhsa_system_sgpr_private_segment_wavefront_offset 0
		.amdhsa_system_sgpr_workgroup_id_x 1
		.amdhsa_system_sgpr_workgroup_id_y 0
		.amdhsa_system_sgpr_workgroup_id_z 0
		.amdhsa_system_sgpr_workgroup_info 0
		.amdhsa_system_vgpr_workitem_id 0
		.amdhsa_next_free_vgpr 24
		.amdhsa_next_free_sgpr 36
		.amdhsa_reserve_vcc 1
		.amdhsa_reserve_flat_scratch 0
		.amdhsa_float_round_mode_32 0
		.amdhsa_float_round_mode_16_64 0
		.amdhsa_float_denorm_mode_32 3
		.amdhsa_float_denorm_mode_16_64 3
		.amdhsa_dx10_clamp 1
		.amdhsa_ieee_mode 1
		.amdhsa_fp16_overflow 0
		.amdhsa_exception_fp_ieee_invalid_op 0
		.amdhsa_exception_fp_denorm_src 0
		.amdhsa_exception_fp_ieee_div_zero 0
		.amdhsa_exception_fp_ieee_overflow 0
		.amdhsa_exception_fp_ieee_underflow 0
		.amdhsa_exception_fp_ieee_inexact 0
		.amdhsa_exception_int_div_zero 0
	.end_amdhsa_kernel
	.text
.Lfunc_end0:
	.size	_Z17StringSearchNaivePKhjS0_jPjS1_j, .Lfunc_end0-_Z17StringSearchNaivePKhjS0_jPjS1_j
                                        ; -- End function
	.set _Z17StringSearchNaivePKhjS0_jPjS1_j.num_vgpr, 24
	.set _Z17StringSearchNaivePKhjS0_jPjS1_j.num_agpr, 0
	.set _Z17StringSearchNaivePKhjS0_jPjS1_j.numbered_sgpr, 36
	.set _Z17StringSearchNaivePKhjS0_jPjS1_j.num_named_barrier, 0
	.set _Z17StringSearchNaivePKhjS0_jPjS1_j.private_seg_size, 0
	.set _Z17StringSearchNaivePKhjS0_jPjS1_j.uses_vcc, 1
	.set _Z17StringSearchNaivePKhjS0_jPjS1_j.uses_flat_scratch, 0
	.set _Z17StringSearchNaivePKhjS0_jPjS1_j.has_dyn_sized_stack, 0
	.set _Z17StringSearchNaivePKhjS0_jPjS1_j.has_recursion, 0
	.set _Z17StringSearchNaivePKhjS0_jPjS1_j.has_indirect_call, 0
	.section	.AMDGPU.csdata,"",@progbits
; Kernel info:
; codeLenInByte = 1772
; TotalNumSgprs: 40
; NumVgprs: 24
; ScratchSize: 0
; MemoryBound: 0
; FloatMode: 240
; IeeeMode: 1
; LDSByteSize: 4 bytes/workgroup (compile time only)
; SGPRBlocks: 4
; VGPRBlocks: 5
; NumSGPRsForWavesPerEU: 40
; NumVGPRsForWavesPerEU: 24
; Occupancy: 10
; WaveLimiterHint : 0
; COMPUTE_PGM_RSRC2:SCRATCH_EN: 0
; COMPUTE_PGM_RSRC2:USER_SGPR: 6
; COMPUTE_PGM_RSRC2:TRAP_HANDLER: 0
; COMPUTE_PGM_RSRC2:TGID_X_EN: 1
; COMPUTE_PGM_RSRC2:TGID_Y_EN: 0
; COMPUTE_PGM_RSRC2:TGID_Z_EN: 0
; COMPUTE_PGM_RSRC2:TIDIG_COMP_CNT: 0
	.text
	.protected	_Z23StringSearchLoadBalancePKhjS0_jPjS1_j ; -- Begin function _Z23StringSearchLoadBalancePKhjS0_jPjS1_j
	.globl	_Z23StringSearchLoadBalancePKhjS0_jPjS1_j
	.p2align	8
	.type	_Z23StringSearchLoadBalancePKhjS0_jPjS1_j,@function
_Z23StringSearchLoadBalancePKhjS0_jPjS1_j: ; @_Z23StringSearchLoadBalancePKhjS0_jPjS1_j
; %bb.0:
	v_cmp_eq_u32_e64 s[0:1], 0, v0
	s_and_saveexec_b64 s[2:3], s[0:1]
; %bb.1:
	v_mov_b32_e32 v1, 0
	v_mov_b32_e32 v2, v1
	v_mov_b32_e32 v3, v1
	ds_write_b96 v1, v[1:3] offset:4096
; %bb.2:
	s_or_b64 exec, exec, s[2:3]
	s_load_dword s2, s[4:5], 0x8
	s_load_dword s27, s[4:5], 0x18
	;; [unrolled: 1-line block ×3, first 2 shown]
	s_waitcnt lgkmcnt(0)
	s_sub_i32 s14, s2, s27
	s_add_i32 s14, s14, 1
	s_mul_i32 s7, s12, s6
	s_cmp_gt_u32 s7, s14
	s_cbranch_scc1 .LBB1_49
; %bb.3:
	s_load_dword s2, s[4:5], 0x44
	v_cmp_gt_u32_e32 vcc, s27, v0
	s_waitcnt lgkmcnt(0)
	s_and_b32 s26, 0xffff, s2
	s_and_saveexec_b64 s[2:3], vcc
	s_cbranch_execz .LBB1_6
; %bb.4:
	s_load_dwordx2 s[8:9], s[4:5], 0x10
	s_mov_b64 s[10:11], 0
	v_mov_b32_e32 v1, 26
	v_mov_b32_e32 v2, v0
.LBB1_5:                                ; =>This Inner Loop Header: Depth=1
	s_waitcnt lgkmcnt(0)
	global_load_ubyte v3, v2, s[8:9]
	v_add_u32_e32 v4, 0x100c, v2
	v_add_u32_e32 v2, s26, v2
	v_cmp_le_u32_e32 vcc, s27, v2
	s_or_b64 s[10:11], vcc, s[10:11]
	s_waitcnt vmcnt(0)
	v_add_u16_e32 v5, 0xffbf, v3
	v_add_u16_e32 v6, 32, v3
	v_cmp_lt_u16_sdwa vcc, v5, v1 src0_sel:BYTE_0 src1_sel:DWORD
	v_cndmask_b32_e32 v3, v3, v6, vcc
	ds_write_b8 v4, v3
	s_andn2_b64 exec, exec, s[10:11]
	s_cbranch_execnz .LBB1_5
.LBB1_6:
	s_or_b64 exec, exec, s[2:3]
	v_cvt_f32_u32_e32 v1, s26
	s_add_i32 s2, s7, s12
	s_min_u32 s2, s2, s14
	s_add_i32 s27, s27, -10
	v_rcp_iflag_f32_e32 v1, v1
	s_sub_i32 s28, s2, s7
	s_cmp_lg_u32 s27, 0
	s_load_dwordx2 s[12:13], s[4:5], 0x0
	s_load_dwordx4 s[8:11], s[4:5], 0x20
	v_mul_f32_e32 v1, 0x4f7ffffe, v1
	v_cvt_u32_f32_e32 v1, v1
	s_cselect_b64 s[2:3], -1, 0
	s_sub_i32 s4, 0, s26
	v_mov_b32_e32 v5, 0x100c
	v_mul_lo_u32 v2, s4, v1
	s_waitcnt lgkmcnt(0)
	s_barrier
	v_mul_hi_u32 v2, v1, v2
	ds_read_u8 v6, v5
	ds_read_u8 v7, v5 offset:1
	s_add_u32 s4, s12, s7
	s_addc_u32 s5, s13, 0
	v_add_u32_e32 v8, v1, v2
	s_add_u32 s29, s4, 10
	v_cndmask_b32_e64 v1, 0, 1, s[2:3]
	v_mov_b32_e32 v2, 0
	s_addc_u32 s30, s5, 0
	s_mov_b64 s[4:5], 0
	v_cmp_ne_u32_e64 s[2:3], 1, v1
	s_add_i32 s31, 0x100c, 10
	v_mov_b32_e32 v9, 26
	s_mov_b64 s[14:15], 0
	s_mov_b64 s[16:17], 0
	v_mov_b32_e32 v10, v0
	s_branch .LBB1_9
.LBB1_7:                                ;   in Loop: Header=BB1_9 Depth=1
	s_or_b64 exec, exec, s[16:17]
	s_waitcnt lgkmcnt(0)
	v_readfirstlane_b32 s16, v4
	s_add_i32 s16, s7, s16
	v_add_u32_e32 v13, s7, v1
	v_add_u32_e32 v1, s16, v3
	v_lshlrev_b64 v[3:4], 2, v[1:2]
	v_mov_b32_e32 v1, s9
	v_add_co_u32_e32 v3, vcc, s8, v3
	v_addc_co_u32_e32 v4, vcc, v1, v4, vcc
	global_store_dword v[3:4], v13, off
.LBB1_8:                                ;   in Loop: Header=BB1_9 Depth=1
	s_or_b64 exec, exec, s[14:15]
	v_mul_hi_u32 v1, v12, v8
	s_waitcnt vmcnt(0)
	s_barrier
	v_mul_lo_u32 v1, v1, s26
	ds_read_b64 v[3:4], v2 offset:4096
	s_mov_b64 s[16:17], 0
	v_sub_u32_e32 v1, v12, v1
	v_subrev_u32_e32 v12, s26, v1
	v_cmp_le_u32_e32 vcc, s26, v1
	v_cndmask_b32_e32 v1, v1, v12, vcc
	v_subrev_u32_e32 v12, s26, v1
	v_cmp_le_u32_e32 vcc, s26, v1
	v_cndmask_b32_e32 v1, v1, v12, vcc
	v_xor_b32_e32 v1, v1, v11
	s_waitcnt lgkmcnt(0)
	v_readfirstlane_b32 s14, v3
	v_readfirstlane_b32 s15, v4
	v_sub_u32_e32 v1, v11, v1
	s_or_b32 s14, s14, s15
	v_add_u32_e32 v1, v10, v1
	s_cmp_eq_u32 s14, 0
	v_cmp_le_u32_e32 vcc, s28, v1
	s_cselect_b64 s[14:15], -1, 0
	s_and_b64 s[14:15], s[14:15], vcc
	s_and_b64 s[14:15], exec, s[14:15]
	s_or_b64 s[4:5], s[14:15], s[4:5]
	s_mov_b64 s[14:15], 0
	s_andn2_b64 exec, exec, s[4:5]
	s_cbranch_execz .LBB1_47
.LBB1_9:                                ; =>This Loop Header: Depth=1
                                        ;     Child Loop BB1_40 Depth 2
	v_cmp_gt_u32_e32 vcc, s28, v10
	s_and_saveexec_b64 s[18:19], vcc
	s_cbranch_execz .LBB1_15
; %bb.10:                               ;   in Loop: Header=BB1_9 Depth=1
	v_add_u32_e32 v1, s7, v10
	global_load_ubyte v3, v1, s[12:13]
	s_waitcnt vmcnt(0)
	v_add_u16_e32 v4, 0xffbf, v3
	v_add_u16_e32 v11, 32, v3
	v_cmp_lt_u16_sdwa vcc, v4, v9 src0_sel:BYTE_0 src1_sel:DWORD
	v_cndmask_b32_e32 v3, v3, v11, vcc
	s_waitcnt lgkmcnt(1)
	v_cmp_eq_u16_sdwa s[20:21], v6, v3 src0_sel:BYTE_0 src1_sel:BYTE_0
	s_and_b64 exec, exec, s[20:21]
	s_cbranch_execz .LBB1_15
; %bb.11:                               ;   in Loop: Header=BB1_9 Depth=1
	v_add_u32_e32 v1, 1, v1
	global_load_ubyte v1, v1, s[12:13]
	s_waitcnt vmcnt(0)
	v_add_u16_e32 v3, 0xffbf, v1
	v_add_u16_e32 v4, 32, v1
	v_cmp_lt_u16_sdwa vcc, v3, v9 src0_sel:BYTE_0 src1_sel:DWORD
	v_cndmask_b32_e32 v1, v1, v4, vcc
	s_waitcnt lgkmcnt(0)
	v_cmp_eq_u16_sdwa s[20:21], v7, v1 src0_sel:BYTE_0 src1_sel:BYTE_0
	s_and_b64 exec, exec, s[20:21]
	s_cbranch_execz .LBB1_15
; %bb.12:                               ;   in Loop: Header=BB1_9 Depth=1
	s_mov_b64 s[22:23], exec
	v_mbcnt_lo_u32_b32 v1, s22, 0
	v_mbcnt_hi_u32_b32 v1, s23, v1
	v_cmp_eq_u32_e32 vcc, 0, v1
                                        ; implicit-def: $vgpr3
	s_and_saveexec_b64 s[20:21], vcc
; %bb.13:                               ;   in Loop: Header=BB1_9 Depth=1
	s_bcnt1_i32_b64 s22, s[22:23]
	v_mov_b32_e32 v3, s22
	ds_add_rtn_u32 v3, v2, v3 offset:4096
; %bb.14:                               ;   in Loop: Header=BB1_9 Depth=1
	s_or_b64 exec, exec, s[20:21]
	s_waitcnt lgkmcnt(0)
	v_readfirstlane_b32 s20, v3
	v_add_lshl_u32 v1, s20, v1, 2
	ds_write_b32 v1, v10
.LBB1_15:                               ;   in Loop: Header=BB1_9 Depth=1
	s_or_b64 exec, exec, s[18:19]
	s_waitcnt lgkmcnt(0)
	s_barrier
	ds_read_b32 v1, v2 offset:4096
	v_add_u32_e32 v10, s26, v10
	s_mov_b64 s[18:19], -1
	s_waitcnt lgkmcnt(0)
	s_barrier
	v_cmp_le_u32_e32 vcc, s26, v1
	s_cbranch_vccz .LBB1_42
; %bb.16:                               ;   in Loop: Header=BB1_9 Depth=1
	s_and_b64 s[18:19], exec, s[18:19]
	s_or_b64 s[16:17], s[18:19], s[16:17]
	s_andn2_b64 exec, exec, s[16:17]
	s_cbranch_execnz .LBB1_9
.LBB1_17:                               ;   in Loop: Header=BB1_9 Depth=1
	s_or_b64 exec, exec, s[16:17]
	v_cmp_lt_u32_e32 vcc, v0, v1
	s_and_saveexec_b64 s[16:17], vcc
	s_cbranch_execz .LBB1_31
; %bb.18:                               ;   in Loop: Header=BB1_9 Depth=1
	s_mov_b64 s[20:21], exec
	v_mbcnt_lo_u32_b32 v1, s20, 0
	v_mbcnt_hi_u32_b32 v1, s21, v1
	v_cmp_eq_u32_e32 vcc, 0, v1
                                        ; implicit-def: $vgpr3
	s_and_saveexec_b64 s[18:19], vcc
; %bb.19:                               ;   in Loop: Header=BB1_9 Depth=1
	s_bcnt1_i32_b64 s20, s[20:21]
	s_sub_i32 s20, 0, s20
	v_mov_b32_e32 v3, s20
	ds_add_rtn_u32 v3, v2, v3 offset:4096
; %bb.20:                               ;   in Loop: Header=BB1_9 Depth=1
	s_or_b64 exec, exec, s[18:19]
	s_waitcnt lgkmcnt(0)
	v_readfirstlane_b32 s18, v3
	v_sub_u32_e32 v1, s18, v1
	v_lshl_add_u32 v1, v1, 2, -4
	ds_read_b32 v1, v1
	ds_read_u8 v11, v5 offset:2
	s_waitcnt lgkmcnt(1)
	v_add_u32_e32 v3, s7, v1
	v_add_u32_e32 v4, 2, v3
	global_load_ubyte v4, v4, s[12:13]
	s_waitcnt vmcnt(0)
	v_add_u16_e32 v12, 0xffbf, v4
	v_add_u16_e32 v13, 32, v4
	v_cmp_lt_u16_sdwa vcc, v12, v9 src0_sel:BYTE_0 src1_sel:DWORD
	v_cndmask_b32_e32 v4, v4, v13, vcc
	s_waitcnt lgkmcnt(0)
	v_cmp_eq_u16_sdwa s[18:19], v11, v4 src0_sel:DWORD src1_sel:BYTE_0
	s_and_b64 exec, exec, s[18:19]
	s_cbranch_execz .LBB1_31
; %bb.21:                               ;   in Loop: Header=BB1_9 Depth=1
	v_add_u32_e32 v4, 3, v3
	global_load_ubyte v4, v4, s[12:13]
	ds_read_u8 v11, v5 offset:3
	s_waitcnt vmcnt(0)
	v_add_u16_e32 v12, 0xffbf, v4
	v_add_u16_e32 v13, 32, v4
	v_cmp_lt_u16_sdwa vcc, v12, v9 src0_sel:BYTE_0 src1_sel:DWORD
	v_cndmask_b32_e32 v4, v4, v13, vcc
	s_waitcnt lgkmcnt(0)
	v_cmp_eq_u16_sdwa s[18:19], v11, v4 src0_sel:DWORD src1_sel:BYTE_0
	s_and_b64 exec, exec, s[18:19]
	s_cbranch_execz .LBB1_31
; %bb.22:                               ;   in Loop: Header=BB1_9 Depth=1
	v_add_u32_e32 v4, 4, v3
	global_load_ubyte v4, v4, s[12:13]
	ds_read_u8 v11, v5 offset:4
	s_waitcnt vmcnt(0)
	v_add_u16_e32 v12, 0xffbf, v4
	v_add_u16_e32 v13, 32, v4
	v_cmp_lt_u16_sdwa vcc, v12, v9 src0_sel:BYTE_0 src1_sel:DWORD
	v_cndmask_b32_e32 v4, v4, v13, vcc
	s_waitcnt lgkmcnt(0)
	v_cmp_eq_u16_sdwa s[18:19], v11, v4 src0_sel:DWORD src1_sel:BYTE_0
	s_and_b64 exec, exec, s[18:19]
	s_cbranch_execz .LBB1_31
; %bb.23:                               ;   in Loop: Header=BB1_9 Depth=1
	v_add_u32_e32 v4, 5, v3
	global_load_ubyte v4, v4, s[12:13]
	ds_read_u8 v11, v5 offset:5
	s_waitcnt vmcnt(0)
	v_add_u16_e32 v12, 0xffbf, v4
	v_add_u16_e32 v13, 32, v4
	v_cmp_lt_u16_sdwa vcc, v12, v9 src0_sel:BYTE_0 src1_sel:DWORD
	v_cndmask_b32_e32 v4, v4, v13, vcc
	s_waitcnt lgkmcnt(0)
	v_cmp_eq_u16_sdwa s[18:19], v11, v4 src0_sel:DWORD src1_sel:BYTE_0
	s_and_b64 exec, exec, s[18:19]
	s_cbranch_execz .LBB1_31
; %bb.24:                               ;   in Loop: Header=BB1_9 Depth=1
	v_add_u32_e32 v4, 6, v3
	global_load_ubyte v4, v4, s[12:13]
	ds_read_u8 v11, v5 offset:6
	s_waitcnt vmcnt(0)
	v_add_u16_e32 v12, 0xffbf, v4
	v_add_u16_e32 v13, 32, v4
	v_cmp_lt_u16_sdwa vcc, v12, v9 src0_sel:BYTE_0 src1_sel:DWORD
	v_cndmask_b32_e32 v4, v4, v13, vcc
	s_waitcnt lgkmcnt(0)
	v_cmp_eq_u16_sdwa s[18:19], v11, v4 src0_sel:DWORD src1_sel:BYTE_0
	s_and_b64 exec, exec, s[18:19]
	s_cbranch_execz .LBB1_31
; %bb.25:                               ;   in Loop: Header=BB1_9 Depth=1
	v_add_u32_e32 v4, 7, v3
	global_load_ubyte v4, v4, s[12:13]
	ds_read_u8 v11, v5 offset:7
	s_waitcnt vmcnt(0)
	v_add_u16_e32 v12, 0xffbf, v4
	v_add_u16_e32 v13, 32, v4
	v_cmp_lt_u16_sdwa vcc, v12, v9 src0_sel:BYTE_0 src1_sel:DWORD
	v_cndmask_b32_e32 v4, v4, v13, vcc
	s_waitcnt lgkmcnt(0)
	v_cmp_eq_u16_sdwa s[18:19], v11, v4 src0_sel:DWORD src1_sel:BYTE_0
	s_and_b64 exec, exec, s[18:19]
	s_cbranch_execz .LBB1_31
; %bb.26:                               ;   in Loop: Header=BB1_9 Depth=1
	v_add_u32_e32 v4, 8, v3
	global_load_ubyte v4, v4, s[12:13]
	ds_read_u8 v11, v5 offset:8
	s_waitcnt vmcnt(0)
	v_add_u16_e32 v12, 0xffbf, v4
	v_add_u16_e32 v13, 32, v4
	v_cmp_lt_u16_sdwa vcc, v12, v9 src0_sel:BYTE_0 src1_sel:DWORD
	v_cndmask_b32_e32 v4, v4, v13, vcc
	s_waitcnt lgkmcnt(0)
	v_cmp_eq_u16_sdwa s[18:19], v11, v4 src0_sel:DWORD src1_sel:BYTE_0
	s_and_b64 exec, exec, s[18:19]
	s_cbranch_execz .LBB1_31
; %bb.27:                               ;   in Loop: Header=BB1_9 Depth=1
	v_add_u32_e32 v3, 9, v3
	global_load_ubyte v3, v3, s[12:13]
	ds_read_u8 v4, v5 offset:9
	s_waitcnt vmcnt(0)
	v_add_u16_e32 v11, 0xffbf, v3
	v_add_u16_e32 v12, 32, v3
	v_cmp_lt_u16_sdwa vcc, v11, v9 src0_sel:BYTE_0 src1_sel:DWORD
	v_cndmask_b32_e32 v3, v3, v12, vcc
	s_waitcnt lgkmcnt(0)
	v_cmp_eq_u16_sdwa s[18:19], v4, v3 src0_sel:DWORD src1_sel:BYTE_0
	s_and_b64 exec, exec, s[18:19]
	s_cbranch_execz .LBB1_31
; %bb.28:                               ;   in Loop: Header=BB1_9 Depth=1
	s_mov_b64 s[20:21], exec
	v_mbcnt_lo_u32_b32 v3, s20, 0
	v_mbcnt_hi_u32_b32 v3, s21, v3
	v_cmp_eq_u32_e32 vcc, 0, v3
                                        ; implicit-def: $vgpr4
	s_and_saveexec_b64 s[18:19], vcc
; %bb.29:                               ;   in Loop: Header=BB1_9 Depth=1
	s_bcnt1_i32_b64 s20, s[20:21]
	v_mov_b32_e32 v4, s20
	ds_add_rtn_u32 v4, v2, v4 offset:4100
; %bb.30:                               ;   in Loop: Header=BB1_9 Depth=1
	s_or_b64 exec, exec, s[18:19]
	s_waitcnt lgkmcnt(0)
	v_readfirstlane_b32 s18, v4
	v_add_lshl_u32 v3, s18, v3, 2
	ds_write_b32 v3, v1 offset:2048
.LBB1_31:                               ;   in Loop: Header=BB1_9 Depth=1
	s_or_b64 exec, exec, s[16:17]
	s_waitcnt lgkmcnt(0)
	s_barrier
	ds_read_b32 v1, v2 offset:4100
	v_sub_u32_e32 v3, 0, v10
	s_mov_b64 s[16:17], -1
	v_ashrrev_i32_e32 v11, 31, v10
	v_max_i32_e32 v12, v10, v3
	s_waitcnt lgkmcnt(0)
	v_cmp_le_u32_e32 vcc, s26, v1
	s_barrier
	s_cbranch_vccnz .LBB1_33
; %bb.32:                               ;   in Loop: Header=BB1_9 Depth=1
	v_mul_hi_u32 v3, v12, v8
	v_mul_lo_u32 v3, v3, s26
	v_sub_u32_e32 v3, v12, v3
	v_subrev_u32_e32 v4, s26, v3
	v_cmp_le_u32_e32 vcc, s26, v3
	v_cndmask_b32_e32 v3, v3, v4, vcc
	v_subrev_u32_e32 v4, s26, v3
	v_cmp_le_u32_e32 vcc, s26, v3
	v_cndmask_b32_e32 v3, v3, v4, vcc
	v_xor_b32_e32 v3, v3, v11
	v_sub_u32_e32 v3, v11, v3
	v_add_u32_e32 v3, v10, v3
	v_cmp_le_u32_e32 vcc, s28, v3
	s_orn2_b64 s[16:17], vcc, exec
.LBB1_33:                               ;   in Loop: Header=BB1_9 Depth=1
	s_and_b64 s[16:17], exec, s[16:17]
	s_or_b64 s[14:15], s[16:17], s[14:15]
	s_mov_b64 s[16:17], 0
	s_andn2_b64 exec, exec, s[14:15]
	s_cbranch_execnz .LBB1_9
; %bb.34:                               ;   in Loop: Header=BB1_9 Depth=1
	s_or_b64 exec, exec, s[14:15]
	v_cmp_lt_u32_e32 vcc, v0, v1
	s_and_saveexec_b64 s[14:15], vcc
	s_cbranch_execz .LBB1_8
; %bb.35:                               ;   in Loop: Header=BB1_9 Depth=1
	s_mov_b64 s[18:19], exec
	v_mbcnt_lo_u32_b32 v1, s18, 0
	v_mbcnt_hi_u32_b32 v1, s19, v1
	v_cmp_eq_u32_e32 vcc, 0, v1
                                        ; implicit-def: $vgpr3
	s_and_saveexec_b64 s[16:17], vcc
; %bb.36:                               ;   in Loop: Header=BB1_9 Depth=1
	s_bcnt1_i32_b64 s18, s[18:19]
	s_sub_i32 s18, 0, s18
	v_mov_b32_e32 v3, s18
	ds_add_rtn_u32 v3, v2, v3 offset:4100
; %bb.37:                               ;   in Loop: Header=BB1_9 Depth=1
	s_or_b64 exec, exec, s[16:17]
	s_waitcnt lgkmcnt(0)
	v_readfirstlane_b32 s16, v3
	v_sub_u32_e32 v1, s16, v1
	v_lshlrev_b32_e32 v1, 2, v1
	ds_read_b32 v1, v1 offset:2044
	s_and_b64 vcc, exec, s[2:3]
	s_waitcnt lgkmcnt(0)
	v_ashrrev_i32_e32 v4, 31, v1
	s_cbranch_vccnz .LBB1_44
; %bb.38:                               ;   in Loop: Header=BB1_9 Depth=1
	v_mov_b32_e32 v13, s30
	v_add_co_u32_e32 v3, vcc, s29, v1
	v_addc_co_u32_e32 v4, vcc, v13, v4, vcc
	s_mov_b64 s[18:19], 0
	s_mov_b32 s33, s27
	s_mov_b32 s34, s31
                                        ; implicit-def: $sgpr16_sgpr17
                                        ; implicit-def: $sgpr22_sgpr23
                                        ; implicit-def: $sgpr20_sgpr21
	s_branch .LBB1_40
.LBB1_39:                               ;   in Loop: Header=BB1_40 Depth=2
	s_or_b64 exec, exec, s[24:25]
	s_xor_b64 s[24:25], s[20:21], -1
	s_and_b64 s[36:37], exec, s[22:23]
	s_or_b64 s[18:19], s[36:37], s[18:19]
	s_andn2_b64 s[16:17], s[16:17], exec
	s_and_b64 s[24:25], s[24:25], exec
	s_or_b64 s[16:17], s[16:17], s[24:25]
	s_andn2_b64 exec, exec, s[18:19]
	s_cbranch_execz .LBB1_43
.LBB1_40:                               ;   Parent Loop BB1_9 Depth=1
                                        ; =>  This Inner Loop Header: Depth=2
	global_load_ubyte v13, v[3:4], off
	v_mov_b32_e32 v14, s34
	ds_read_u8 v14, v14
	s_or_b64 s[20:21], s[20:21], exec
	s_or_b64 s[22:23], s[22:23], exec
	s_waitcnt vmcnt(0)
	v_add_u16_e32 v15, 0xffbf, v13
	v_add_u16_e32 v16, 32, v13
	v_cmp_lt_u16_sdwa vcc, v15, v9 src0_sel:BYTE_0 src1_sel:DWORD
	v_cndmask_b32_e32 v13, v13, v16, vcc
	s_waitcnt lgkmcnt(0)
	v_cmp_eq_u16_sdwa s[36:37], v13, v14 src0_sel:BYTE_0 src1_sel:DWORD
	s_and_saveexec_b64 s[24:25], s[36:37]
	s_cbranch_execz .LBB1_39
; %bb.41:                               ;   in Loop: Header=BB1_40 Depth=2
	s_add_i32 s34, s34, 1
	s_add_i32 s33, s33, -1
	s_cmp_eq_u32 s33, 0
	s_cselect_b64 s[36:37], -1, 0
	v_add_co_u32_e32 v3, vcc, 1, v3
	s_andn2_b64 s[22:23], s[22:23], exec
	s_and_b64 s[36:37], s[36:37], exec
	v_addc_co_u32_e32 v4, vcc, 0, v4, vcc
	s_andn2_b64 s[20:21], s[20:21], exec
	s_or_b64 s[22:23], s[22:23], s[36:37]
	s_branch .LBB1_39
.LBB1_42:                               ;   in Loop: Header=BB1_9 Depth=1
	v_sub_u32_e32 v3, 0, v10
	v_max_i32_e32 v3, v10, v3
	v_mul_hi_u32 v4, v3, v8
	v_ashrrev_i32_e32 v11, 31, v10
	v_mul_lo_u32 v4, v4, s26
	v_sub_u32_e32 v3, v3, v4
	v_subrev_u32_e32 v4, s26, v3
	v_cmp_le_u32_e32 vcc, s26, v3
	v_cndmask_b32_e32 v3, v3, v4, vcc
	v_subrev_u32_e32 v4, s26, v3
	v_cmp_le_u32_e32 vcc, s26, v3
	v_cndmask_b32_e32 v3, v3, v4, vcc
	v_xor_b32_e32 v3, v3, v11
	v_sub_u32_e32 v3, v11, v3
	v_add_u32_e32 v3, v10, v3
	v_cmp_le_u32_e32 vcc, s28, v3
	s_orn2_b64 s[18:19], vcc, exec
	s_and_b64 s[18:19], exec, s[18:19]
	s_or_b64 s[16:17], s[18:19], s[16:17]
	s_andn2_b64 exec, exec, s[16:17]
	s_cbranch_execnz .LBB1_9
	s_branch .LBB1_17
.LBB1_43:                               ;   in Loop: Header=BB1_9 Depth=1
	s_or_b64 exec, exec, s[18:19]
	s_and_b64 exec, exec, s[16:17]
	s_cbranch_execz .LBB1_8
	s_branch .LBB1_45
.LBB1_44:                               ;   in Loop: Header=BB1_9 Depth=1
	s_mov_b64 s[16:17], -1
	s_and_b64 exec, exec, s[16:17]
	s_cbranch_execz .LBB1_8
.LBB1_45:                               ;   in Loop: Header=BB1_9 Depth=1
	s_mov_b64 s[18:19], exec
	v_mbcnt_lo_u32_b32 v3, s18, 0
	v_mbcnt_hi_u32_b32 v3, s19, v3
	v_cmp_eq_u32_e32 vcc, 0, v3
                                        ; implicit-def: $vgpr4
	s_and_saveexec_b64 s[16:17], vcc
	s_cbranch_execz .LBB1_7
; %bb.46:                               ;   in Loop: Header=BB1_9 Depth=1
	s_bcnt1_i32_b64 s18, s[18:19]
	v_mov_b32_e32 v4, s18
	ds_add_rtn_u32 v4, v2, v4 offset:4104
	s_branch .LBB1_7
.LBB1_47:
	s_or_b64 exec, exec, s[4:5]
	s_and_saveexec_b64 s[2:3], s[0:1]
	s_cbranch_execz .LBB1_49
; %bb.48:
	v_mov_b32_e32 v0, 0
	ds_read_b32 v1, v0 offset:4104
	s_ashr_i32 s7, s6, 31
	s_lshl_b64 s[0:1], s[6:7], 2
	s_add_u32 s0, s10, s0
	s_addc_u32 s1, s11, s1
	s_waitcnt lgkmcnt(0)
	global_store_dword v0, v1, s[0:1]
.LBB1_49:
	s_endpgm
	.section	.rodata,"a",@progbits
	.p2align	6, 0x0
	.amdhsa_kernel _Z23StringSearchLoadBalancePKhjS0_jPjS1_j
		.amdhsa_group_segment_fixed_size 4108
		.amdhsa_private_segment_fixed_size 0
		.amdhsa_kernarg_size 312
		.amdhsa_user_sgpr_count 6
		.amdhsa_user_sgpr_private_segment_buffer 1
		.amdhsa_user_sgpr_dispatch_ptr 0
		.amdhsa_user_sgpr_queue_ptr 0
		.amdhsa_user_sgpr_kernarg_segment_ptr 1
		.amdhsa_user_sgpr_dispatch_id 0
		.amdhsa_user_sgpr_flat_scratch_init 0
		.amdhsa_user_sgpr_private_segment_size 0
		.amdhsa_uses_dynamic_stack 0
		.amdhsa_system_sgpr_private_segment_wavefront_offset 0
		.amdhsa_system_sgpr_workgroup_id_x 1
		.amdhsa_system_sgpr_workgroup_id_y 0
		.amdhsa_system_sgpr_workgroup_id_z 0
		.amdhsa_system_sgpr_workgroup_info 0
		.amdhsa_system_vgpr_workitem_id 0
		.amdhsa_next_free_vgpr 29
		.amdhsa_next_free_sgpr 61
		.amdhsa_reserve_vcc 1
		.amdhsa_reserve_flat_scratch 0
		.amdhsa_float_round_mode_32 0
		.amdhsa_float_round_mode_16_64 0
		.amdhsa_float_denorm_mode_32 3
		.amdhsa_float_denorm_mode_16_64 3
		.amdhsa_dx10_clamp 1
		.amdhsa_ieee_mode 1
		.amdhsa_fp16_overflow 0
		.amdhsa_exception_fp_ieee_invalid_op 0
		.amdhsa_exception_fp_denorm_src 0
		.amdhsa_exception_fp_ieee_div_zero 0
		.amdhsa_exception_fp_ieee_overflow 0
		.amdhsa_exception_fp_ieee_underflow 0
		.amdhsa_exception_fp_ieee_inexact 0
		.amdhsa_exception_int_div_zero 0
	.end_amdhsa_kernel
	.text
.Lfunc_end1:
	.size	_Z23StringSearchLoadBalancePKhjS0_jPjS1_j, .Lfunc_end1-_Z23StringSearchLoadBalancePKhjS0_jPjS1_j
                                        ; -- End function
	.set _Z23StringSearchLoadBalancePKhjS0_jPjS1_j.num_vgpr, 17
	.set _Z23StringSearchLoadBalancePKhjS0_jPjS1_j.num_agpr, 0
	.set _Z23StringSearchLoadBalancePKhjS0_jPjS1_j.numbered_sgpr, 38
	.set _Z23StringSearchLoadBalancePKhjS0_jPjS1_j.num_named_barrier, 0
	.set _Z23StringSearchLoadBalancePKhjS0_jPjS1_j.private_seg_size, 0
	.set _Z23StringSearchLoadBalancePKhjS0_jPjS1_j.uses_vcc, 1
	.set _Z23StringSearchLoadBalancePKhjS0_jPjS1_j.uses_flat_scratch, 0
	.set _Z23StringSearchLoadBalancePKhjS0_jPjS1_j.has_dyn_sized_stack, 0
	.set _Z23StringSearchLoadBalancePKhjS0_jPjS1_j.has_recursion, 0
	.set _Z23StringSearchLoadBalancePKhjS0_jPjS1_j.has_indirect_call, 0
	.section	.AMDGPU.csdata,"",@progbits
; Kernel info:
; codeLenInByte = 2228
; TotalNumSgprs: 42
; NumVgprs: 17
; ScratchSize: 0
; MemoryBound: 0
; FloatMode: 240
; IeeeMode: 1
; LDSByteSize: 4108 bytes/workgroup (compile time only)
; SGPRBlocks: 8
; VGPRBlocks: 7
; NumSGPRsForWavesPerEU: 65
; NumVGPRsForWavesPerEU: 29
; Occupancy: 8
; WaveLimiterHint : 0
; COMPUTE_PGM_RSRC2:SCRATCH_EN: 0
; COMPUTE_PGM_RSRC2:USER_SGPR: 6
; COMPUTE_PGM_RSRC2:TRAP_HANDLER: 0
; COMPUTE_PGM_RSRC2:TGID_X_EN: 1
; COMPUTE_PGM_RSRC2:TGID_Y_EN: 0
; COMPUTE_PGM_RSRC2:TGID_Z_EN: 0
; COMPUTE_PGM_RSRC2:TIDIG_COMP_CNT: 0
	.section	.AMDGPU.gpr_maximums,"",@progbits
	.set amdgpu.max_num_vgpr, 0
	.set amdgpu.max_num_agpr, 0
	.set amdgpu.max_num_sgpr, 0
	.section	.AMDGPU.csdata,"",@progbits
	.type	__hip_cuid_8fd8be70e38290bf,@object ; @__hip_cuid_8fd8be70e38290bf
	.section	.bss,"aw",@nobits
	.globl	__hip_cuid_8fd8be70e38290bf
__hip_cuid_8fd8be70e38290bf:
	.byte	0                               ; 0x0
	.size	__hip_cuid_8fd8be70e38290bf, 1

	.ident	"AMD clang version 22.0.0git (https://github.com/RadeonOpenCompute/llvm-project roc-7.2.4 26084 f58b06dce1f9c15707c5f808fd002e18c2accf7e)"
	.section	".note.GNU-stack","",@progbits
	.addrsig
	.addrsig_sym __hip_cuid_8fd8be70e38290bf
	.amdgpu_metadata
---
amdhsa.kernels:
  - .args:
      - .address_space:  global
        .offset:         0
        .size:           8
        .value_kind:     global_buffer
      - .offset:         8
        .size:           4
        .value_kind:     by_value
      - .address_space:  global
        .offset:         16
        .size:           8
        .value_kind:     global_buffer
      - .offset:         24
        .size:           4
        .value_kind:     by_value
      - .address_space:  global
        .offset:         32
        .size:           8
        .value_kind:     global_buffer
      - .address_space:  global
        .offset:         40
        .size:           8
        .value_kind:     global_buffer
      - .offset:         48
        .size:           4
        .value_kind:     by_value
      - .offset:         56
        .size:           4
        .value_kind:     hidden_block_count_x
      - .offset:         60
        .size:           4
        .value_kind:     hidden_block_count_y
      - .offset:         64
        .size:           4
        .value_kind:     hidden_block_count_z
      - .offset:         68
        .size:           2
        .value_kind:     hidden_group_size_x
      - .offset:         70
        .size:           2
        .value_kind:     hidden_group_size_y
      - .offset:         72
        .size:           2
        .value_kind:     hidden_group_size_z
      - .offset:         74
        .size:           2
        .value_kind:     hidden_remainder_x
      - .offset:         76
        .size:           2
        .value_kind:     hidden_remainder_y
      - .offset:         78
        .size:           2
        .value_kind:     hidden_remainder_z
      - .offset:         96
        .size:           8
        .value_kind:     hidden_global_offset_x
      - .offset:         104
        .size:           8
        .value_kind:     hidden_global_offset_y
      - .offset:         112
        .size:           8
        .value_kind:     hidden_global_offset_z
      - .offset:         120
        .size:           2
        .value_kind:     hidden_grid_dims
      - .offset:         176
        .size:           4
        .value_kind:     hidden_dynamic_lds_size
    .group_segment_fixed_size: 4
    .kernarg_segment_align: 8
    .kernarg_segment_size: 312
    .language:       OpenCL C
    .language_version:
      - 2
      - 0
    .max_flat_workgroup_size: 1024
    .name:           _Z17StringSearchNaivePKhjS0_jPjS1_j
    .private_segment_fixed_size: 0
    .sgpr_count:     40
    .sgpr_spill_count: 0
    .symbol:         _Z17StringSearchNaivePKhjS0_jPjS1_j.kd
    .uniform_work_group_size: 1
    .uses_dynamic_stack: false
    .vgpr_count:     24
    .vgpr_spill_count: 0
    .wavefront_size: 64
  - .args:
      - .address_space:  global
        .offset:         0
        .size:           8
        .value_kind:     global_buffer
      - .offset:         8
        .size:           4
        .value_kind:     by_value
      - .address_space:  global
        .offset:         16
        .size:           8
        .value_kind:     global_buffer
      - .offset:         24
        .size:           4
        .value_kind:     by_value
      - .address_space:  global
        .offset:         32
        .size:           8
        .value_kind:     global_buffer
      - .address_space:  global
        .offset:         40
        .size:           8
        .value_kind:     global_buffer
      - .offset:         48
        .size:           4
        .value_kind:     by_value
      - .offset:         56
        .size:           4
        .value_kind:     hidden_block_count_x
      - .offset:         60
        .size:           4
        .value_kind:     hidden_block_count_y
      - .offset:         64
        .size:           4
        .value_kind:     hidden_block_count_z
      - .offset:         68
        .size:           2
        .value_kind:     hidden_group_size_x
      - .offset:         70
        .size:           2
        .value_kind:     hidden_group_size_y
      - .offset:         72
        .size:           2
        .value_kind:     hidden_group_size_z
      - .offset:         74
        .size:           2
        .value_kind:     hidden_remainder_x
      - .offset:         76
        .size:           2
        .value_kind:     hidden_remainder_y
      - .offset:         78
        .size:           2
        .value_kind:     hidden_remainder_z
      - .offset:         96
        .size:           8
        .value_kind:     hidden_global_offset_x
      - .offset:         104
        .size:           8
        .value_kind:     hidden_global_offset_y
      - .offset:         112
        .size:           8
        .value_kind:     hidden_global_offset_z
      - .offset:         120
        .size:           2
        .value_kind:     hidden_grid_dims
      - .offset:         176
        .size:           4
        .value_kind:     hidden_dynamic_lds_size
    .group_segment_fixed_size: 4108
    .kernarg_segment_align: 8
    .kernarg_segment_size: 312
    .language:       OpenCL C
    .language_version:
      - 2
      - 0
    .max_flat_workgroup_size: 1024
    .name:           _Z23StringSearchLoadBalancePKhjS0_jPjS1_j
    .private_segment_fixed_size: 0
    .sgpr_count:     42
    .sgpr_spill_count: 0
    .symbol:         _Z23StringSearchLoadBalancePKhjS0_jPjS1_j.kd
    .uniform_work_group_size: 1
    .uses_dynamic_stack: false
    .vgpr_count:     17
    .vgpr_spill_count: 0
    .wavefront_size: 64
amdhsa.target:   amdgcn-amd-amdhsa--gfx906
amdhsa.version:
  - 1
  - 2
...

	.end_amdgpu_metadata
